;; amdgpu-corpus repo=zjin-lcf/HeCBench kind=compiled arch=gfx1250 opt=O3
	.amdgcn_target "amdgcn-amd-amdhsa--gfx1250"
	.amdhsa_code_object_version 6
	.text
	.protected	_Z9referencePKfPhm      ; -- Begin function _Z9referencePKfPhm
	.globl	_Z9referencePKfPhm
	.p2align	8
	.type	_Z9referencePKfPhm,@function
_Z9referencePKfPhm:                     ; @_Z9referencePKfPhm
; %bb.0:
	s_clause 0x1
	s_load_b32 s2, s[0:1], 0x24
	s_load_b128 s[4:7], s[0:1], 0x8
	s_bfe_u32 s3, ttmp6, 0x4000c
	s_and_b32 s9, ttmp6, 15
	s_add_co_i32 s3, s3, 1
	s_getreg_b32 s10, hwreg(HW_REG_IB_STS2, 6, 4)
	s_mul_i32 s3, ttmp9, s3
	v_mov_b32_e32 v1, 0
	s_add_co_i32 s9, s9, s3
	s_wait_kmcnt 0x0
	s_and_b32 s8, s2, 0xffff
	s_cmp_eq_u32 s10, 0
	s_cselect_b32 s2, ttmp9, s9
	s_delay_alu instid0(SALU_CYCLE_1) | instskip(SKIP_3) | instid1(VALU_DEP_1)
	v_mad_nc_u64_u32 v[0:1], s8, s2, v[0:1]
	s_lshr_b64 s[2:3], s[6:7], 2
	s_mov_b32 s7, 0
	s_mov_b32 s6, exec_lo
	v_cmpx_gt_u64_e64 s[2:3], v[0:1]
	s_cbranch_execz .LBB0_3
; %bb.1:
	s_add_nc_u64 s[10:11], s[0:1], 24
	v_lshl_add_u64 v[2:3], v[0:1], 2, s[4:5]
	s_load_b32 s6, s[10:11], 0x0
	s_load_b64 s[12:13], s[0:1], 0x0
	s_wait_kmcnt 0x0
	s_mul_i32 s6, s6, s8
	v_lshl_add_u64 v[4:5], v[0:1], 4, s[12:13]
	s_lshl_b64 s[0:1], s[6:7], 2
	s_lshl_b64 s[4:5], s[6:7], 4
	s_mov_b32 s8, s7
.LBB0_2:                                ; =>This Inner Loop Header: Depth=1
	global_load_b128 v[6:9], v[4:5], off
	v_add_nc_u64_e32 v[0:1], s[6:7], v[0:1]
	s_wait_xcnt 0x0
	v_add_nc_u64_e32 v[4:5], s[4:5], v[4:5]
	s_delay_alu instid0(VALU_DEP_2)
	v_cmp_le_u64_e32 vcc_lo, s[2:3], v[0:1]
	s_or_b32 s8, vcc_lo, s8
	s_wait_loadcnt 0x0
	v_cvt_i32_f32_e32 v7, v7
	v_cvt_i32_f32_e32 v9, v9
	;; [unrolled: 1-line block ×4, first 2 shown]
	s_delay_alu instid0(VALU_DEP_4) | instskip(NEXT) | instid1(VALU_DEP_4)
	v_lshlrev_b16 v7, 8, v7
	v_lshlrev_b16 v9, 8, v9
	s_delay_alu instid0(VALU_DEP_2) | instskip(NEXT) | instid1(VALU_DEP_2)
	v_bitop3_b16 v6, v6, v7, 0xff bitop3:0xec
	v_bitop3_b16 v7, v8, v9, 0xff bitop3:0xec
	s_delay_alu instid0(VALU_DEP_2) | instskip(NEXT) | instid1(VALU_DEP_2)
	v_and_b32_e32 v6, 0xffff, v6
	v_lshlrev_b32_e32 v7, 16, v7
	s_delay_alu instid0(VALU_DEP_1)
	v_or_b32_e32 v6, v6, v7
	global_store_b32 v[2:3], v6, off
	s_wait_xcnt 0x0
	v_add_nc_u64_e32 v[2:3], s[0:1], v[2:3]
	s_and_not1_b32 exec_lo, exec_lo, s8
	s_cbranch_execnz .LBB0_2
.LBB0_3:
	s_endpgm
	.section	.rodata,"a",@progbits
	.p2align	6, 0x0
	.amdhsa_kernel _Z9referencePKfPhm
		.amdhsa_group_segment_fixed_size 0
		.amdhsa_private_segment_fixed_size 0
		.amdhsa_kernarg_size 280
		.amdhsa_user_sgpr_count 2
		.amdhsa_user_sgpr_dispatch_ptr 0
		.amdhsa_user_sgpr_queue_ptr 0
		.amdhsa_user_sgpr_kernarg_segment_ptr 1
		.amdhsa_user_sgpr_dispatch_id 0
		.amdhsa_user_sgpr_kernarg_preload_length 0
		.amdhsa_user_sgpr_kernarg_preload_offset 0
		.amdhsa_user_sgpr_private_segment_size 0
		.amdhsa_wavefront_size32 1
		.amdhsa_uses_dynamic_stack 0
		.amdhsa_enable_private_segment 0
		.amdhsa_system_sgpr_workgroup_id_x 1
		.amdhsa_system_sgpr_workgroup_id_y 0
		.amdhsa_system_sgpr_workgroup_id_z 0
		.amdhsa_system_sgpr_workgroup_info 0
		.amdhsa_system_vgpr_workitem_id 0
		.amdhsa_next_free_vgpr 10
		.amdhsa_next_free_sgpr 14
		.amdhsa_named_barrier_count 0
		.amdhsa_reserve_vcc 1
		.amdhsa_float_round_mode_32 0
		.amdhsa_float_round_mode_16_64 0
		.amdhsa_float_denorm_mode_32 3
		.amdhsa_float_denorm_mode_16_64 3
		.amdhsa_fp16_overflow 0
		.amdhsa_memory_ordered 1
		.amdhsa_forward_progress 1
		.amdhsa_inst_pref_size 3
		.amdhsa_round_robin_scheduling 0
		.amdhsa_exception_fp_ieee_invalid_op 0
		.amdhsa_exception_fp_denorm_src 0
		.amdhsa_exception_fp_ieee_div_zero 0
		.amdhsa_exception_fp_ieee_overflow 0
		.amdhsa_exception_fp_ieee_underflow 0
		.amdhsa_exception_fp_ieee_inexact 0
		.amdhsa_exception_int_div_zero 0
	.end_amdhsa_kernel
	.text
.Lfunc_end0:
	.size	_Z9referencePKfPhm, .Lfunc_end0-_Z9referencePKfPhm
                                        ; -- End function
	.set _Z9referencePKfPhm.num_vgpr, 10
	.set _Z9referencePKfPhm.num_agpr, 0
	.set _Z9referencePKfPhm.numbered_sgpr, 14
	.set _Z9referencePKfPhm.num_named_barrier, 0
	.set _Z9referencePKfPhm.private_seg_size, 0
	.set _Z9referencePKfPhm.uses_vcc, 1
	.set _Z9referencePKfPhm.uses_flat_scratch, 0
	.set _Z9referencePKfPhm.has_dyn_sized_stack, 0
	.set _Z9referencePKfPhm.has_recursion, 0
	.set _Z9referencePKfPhm.has_indirect_call, 0
	.section	.AMDGPU.csdata,"",@progbits
; Kernel info:
; codeLenInByte = 324
; TotalNumSgprs: 16
; NumVgprs: 10
; ScratchSize: 0
; MemoryBound: 0
; FloatMode: 240
; IeeeMode: 1
; LDSByteSize: 0 bytes/workgroup (compile time only)
; SGPRBlocks: 0
; VGPRBlocks: 0
; NumSGPRsForWavesPerEU: 16
; NumVGPRsForWavesPerEU: 10
; NamedBarCnt: 0
; Occupancy: 16
; WaveLimiterHint : 0
; COMPUTE_PGM_RSRC2:SCRATCH_EN: 0
; COMPUTE_PGM_RSRC2:USER_SGPR: 2
; COMPUTE_PGM_RSRC2:TRAP_HANDLER: 0
; COMPUTE_PGM_RSRC2:TGID_X_EN: 1
; COMPUTE_PGM_RSRC2:TGID_Y_EN: 0
; COMPUTE_PGM_RSRC2:TGID_Z_EN: 0
; COMPUTE_PGM_RSRC2:TIDIG_COMP_CNT: 0
	.section	.text._Z6kernelILi256ELi4EEvPKfPhm,"axG",@progbits,_Z6kernelILi256ELi4EEvPKfPhm,comdat
	.protected	_Z6kernelILi256ELi4EEvPKfPhm ; -- Begin function _Z6kernelILi256ELi4EEvPKfPhm
	.globl	_Z6kernelILi256ELi4EEvPKfPhm
	.p2align	8
	.type	_Z6kernelILi256ELi4EEvPKfPhm,@function
_Z6kernelILi256ELi4EEvPKfPhm:           ; @_Z6kernelILi256ELi4EEvPKfPhm
; %bb.0:
	s_load_b128 s[4:7], s[0:1], 0x8
	s_bfe_u32 s2, ttmp6, 0x4000c
	s_and_b32 s3, ttmp6, 15
	s_add_co_i32 s2, s2, 1
	s_getreg_b32 s8, hwreg(HW_REG_IB_STS2, 6, 4)
	s_mul_i32 s2, ttmp9, s2
	s_mov_b32 s11, 0
	s_add_co_i32 s3, s3, s2
	s_cmp_eq_u32 s8, 0
	s_cselect_b32 s10, ttmp9, s3
	s_delay_alu instid0(SALU_CYCLE_1)
	s_lshl_b64 s[8:9], s[10:11], 10
	s_wait_kmcnt 0x0
	v_cmp_le_u64_e64 s2, s[6:7], s[8:9]
	s_and_b32 vcc_lo, exec_lo, s2
	s_cbranch_vccnz .LBB1_19
; %bb.1:
	s_clause 0x1
	s_load_b64 s[2:3], s[0:1], 0x0
	s_load_b32 s12, s[0:1], 0x18
	v_dual_mov_b32 v5, 0 :: v_dual_lshlrev_b32 v4, 2, v0
	v_lshlrev_b32_e32 v0, 4, v0
	s_wait_xcnt 0x0
	s_lshl_b64 s[0:1], s[10:11], 12
	s_delay_alu instid0(VALU_DEP_2)
	v_mov_b32_e32 v1, v5
	v_add_nc_u64_e32 v[6:7], s[4:5], v[4:5]
	v_or_b32_e32 v12, 1, v4
	v_or_b32_e32 v13, 2, v4
	;; [unrolled: 1-line block ×3, first 2 shown]
	s_wait_kmcnt 0x0
	s_add_nc_u64 s[0:1], s[2:3], s[0:1]
	s_lshl_b32 s10, s12, 10
	v_add_nc_u64_e32 v[2:3], s[0:1], v[0:1]
	v_mov_b32_e32 v0, v5
	s_lshl_b64 s[4:5], s[10:11], 2
	s_sub_nc_u64 s[12:13], s[6:7], s[8:9]
	s_delay_alu instid0(VALU_DEP_2)
	v_add_nc_u64_e32 v[8:9], 8, v[2:3]
	v_dual_mov_b32 v2, v5 :: v_dual_mov_b32 v3, v5
	s_branch .LBB1_3
.LBB1_2:                                ;   in Loop: Header=BB1_3 Depth=1
	s_wait_xcnt 0x0
	s_or_b32 exec_lo, exec_lo, s0
	s_add_nc_u64 s[8:9], s[8:9], s[10:11]
	v_add_nc_u64_e32 v[8:9], s[4:5], v[8:9]
	v_cmp_ge_u64_e64 s0, s[8:9], s[6:7]
	s_sub_nc_u64 s[12:13], s[12:13], s[10:11]
	s_and_b32 vcc_lo, exec_lo, s0
	s_cbranch_vccnz .LBB1_19
.LBB1_3:                                ; =>This Inner Loop Header: Depth=1
	v_min_u64 v[10:11], 0x400, s[12:13]
	s_delay_alu instid0(VALU_DEP_1)
	v_cmp_lt_u32_e32 vcc_lo, v4, v10
	s_and_saveexec_b32 s0, vcc_lo
	s_cbranch_execnz .LBB1_11
; %bb.4:                                ;   in Loop: Header=BB1_3 Depth=1
	s_or_b32 exec_lo, exec_lo, s0
	v_cmp_lt_u32_e64 s0, v12, v10
	s_and_saveexec_b32 s1, s0
	s_cbranch_execnz .LBB1_12
.LBB1_5:                                ;   in Loop: Header=BB1_3 Depth=1
	s_or_b32 exec_lo, exec_lo, s1
	v_cmp_lt_u32_e64 s1, v13, v10
	s_and_saveexec_b32 s2, s1
	s_cbranch_execnz .LBB1_13
.LBB1_6:                                ;   in Loop: Header=BB1_3 Depth=1
	s_or_b32 exec_lo, exec_lo, s2
	v_cmp_lt_u32_e64 s2, v14, v10
	s_and_saveexec_b32 s3, s2
	s_cbranch_execnz .LBB1_14
.LBB1_7:                                ;   in Loop: Header=BB1_3 Depth=1
	s_or_b32 exec_lo, exec_lo, s3
	v_add_nc_u64_e32 v[10:11], s[8:9], v[6:7]
	s_and_saveexec_b32 s3, vcc_lo
	s_cbranch_execnz .LBB1_15
.LBB1_8:                                ;   in Loop: Header=BB1_3 Depth=1
	s_or_b32 exec_lo, exec_lo, s3
	s_and_saveexec_b32 s3, s0
	s_cbranch_execnz .LBB1_16
.LBB1_9:                                ;   in Loop: Header=BB1_3 Depth=1
	s_or_b32 exec_lo, exec_lo, s3
	s_and_saveexec_b32 s0, s1
	s_cbranch_execnz .LBB1_17
.LBB1_10:                               ;   in Loop: Header=BB1_3 Depth=1
	s_or_b32 exec_lo, exec_lo, s0
	s_and_saveexec_b32 s0, s2
	s_cbranch_execz .LBB1_2
	s_branch .LBB1_18
.LBB1_11:                               ;   in Loop: Header=BB1_3 Depth=1
	s_wait_loadcnt 0x0
	global_load_b32 v0, v[8:9], off offset:-8
	s_wait_xcnt 0x0
	s_or_b32 exec_lo, exec_lo, s0
	v_cmp_lt_u32_e64 s0, v12, v10
	s_and_saveexec_b32 s1, s0
	s_cbranch_execz .LBB1_5
.LBB1_12:                               ;   in Loop: Header=BB1_3 Depth=1
	s_wait_loadcnt 0x0
	global_load_b32 v1, v[8:9], off offset:-4
	s_wait_xcnt 0x0
	s_or_b32 exec_lo, exec_lo, s1
	v_cmp_lt_u32_e64 s1, v13, v10
	s_and_saveexec_b32 s2, s1
	s_cbranch_execz .LBB1_6
.LBB1_13:                               ;   in Loop: Header=BB1_3 Depth=1
	s_wait_loadcnt 0x0
	global_load_b32 v2, v[8:9], off
	s_wait_xcnt 0x0
	s_or_b32 exec_lo, exec_lo, s2
	v_cmp_lt_u32_e64 s2, v14, v10
	s_and_saveexec_b32 s3, s2
	s_cbranch_execz .LBB1_7
.LBB1_14:                               ;   in Loop: Header=BB1_3 Depth=1
	s_wait_loadcnt 0x0
	global_load_b32 v3, v[8:9], off offset:4
	s_wait_xcnt 0x0
	s_or_b32 exec_lo, exec_lo, s3
	v_add_nc_u64_e32 v[10:11], s[8:9], v[6:7]
	s_and_saveexec_b32 s3, vcc_lo
	s_cbranch_execz .LBB1_8
.LBB1_15:                               ;   in Loop: Header=BB1_3 Depth=1
	s_wait_loadcnt 0x0
	v_cvt_i32_f32_e32 v5, v0
	global_store_b8 v[10:11], v5, off
	s_wait_xcnt 0x0
	s_or_b32 exec_lo, exec_lo, s3
	s_and_saveexec_b32 s3, s0
	s_cbranch_execz .LBB1_9
.LBB1_16:                               ;   in Loop: Header=BB1_3 Depth=1
	s_wait_loadcnt 0x0
	v_cvt_i32_f32_e32 v5, v1
	global_store_b8 v[10:11], v5, off offset:1
	s_wait_xcnt 0x0
	s_or_b32 exec_lo, exec_lo, s3
	s_and_saveexec_b32 s0, s1
	s_cbranch_execz .LBB1_10
.LBB1_17:                               ;   in Loop: Header=BB1_3 Depth=1
	s_wait_loadcnt 0x0
	v_cvt_i32_f32_e32 v5, v2
	global_store_b8 v[10:11], v5, off offset:2
	s_wait_xcnt 0x0
	s_or_b32 exec_lo, exec_lo, s0
	s_and_saveexec_b32 s0, s2
	s_cbranch_execz .LBB1_2
.LBB1_18:                               ;   in Loop: Header=BB1_3 Depth=1
	s_wait_loadcnt 0x0
	v_cvt_i32_f32_e32 v5, v3
	global_store_b8 v[10:11], v5, off offset:3
	s_branch .LBB1_2
.LBB1_19:
	s_endpgm
	.section	.rodata,"a",@progbits
	.p2align	6, 0x0
	.amdhsa_kernel _Z6kernelILi256ELi4EEvPKfPhm
		.amdhsa_group_segment_fixed_size 0
		.amdhsa_private_segment_fixed_size 0
		.amdhsa_kernarg_size 280
		.amdhsa_user_sgpr_count 2
		.amdhsa_user_sgpr_dispatch_ptr 0
		.amdhsa_user_sgpr_queue_ptr 0
		.amdhsa_user_sgpr_kernarg_segment_ptr 1
		.amdhsa_user_sgpr_dispatch_id 0
		.amdhsa_user_sgpr_kernarg_preload_length 0
		.amdhsa_user_sgpr_kernarg_preload_offset 0
		.amdhsa_user_sgpr_private_segment_size 0
		.amdhsa_wavefront_size32 1
		.amdhsa_uses_dynamic_stack 0
		.amdhsa_enable_private_segment 0
		.amdhsa_system_sgpr_workgroup_id_x 1
		.amdhsa_system_sgpr_workgroup_id_y 0
		.amdhsa_system_sgpr_workgroup_id_z 0
		.amdhsa_system_sgpr_workgroup_info 0
		.amdhsa_system_vgpr_workitem_id 0
		.amdhsa_next_free_vgpr 15
		.amdhsa_next_free_sgpr 14
		.amdhsa_named_barrier_count 0
		.amdhsa_reserve_vcc 1
		.amdhsa_float_round_mode_32 0
		.amdhsa_float_round_mode_16_64 0
		.amdhsa_float_denorm_mode_32 3
		.amdhsa_float_denorm_mode_16_64 3
		.amdhsa_fp16_overflow 0
		.amdhsa_memory_ordered 1
		.amdhsa_forward_progress 1
		.amdhsa_inst_pref_size 6
		.amdhsa_round_robin_scheduling 0
		.amdhsa_exception_fp_ieee_invalid_op 0
		.amdhsa_exception_fp_denorm_src 0
		.amdhsa_exception_fp_ieee_div_zero 0
		.amdhsa_exception_fp_ieee_overflow 0
		.amdhsa_exception_fp_ieee_underflow 0
		.amdhsa_exception_fp_ieee_inexact 0
		.amdhsa_exception_int_div_zero 0
	.end_amdhsa_kernel
	.section	.text._Z6kernelILi256ELi4EEvPKfPhm,"axG",@progbits,_Z6kernelILi256ELi4EEvPKfPhm,comdat
.Lfunc_end1:
	.size	_Z6kernelILi256ELi4EEvPKfPhm, .Lfunc_end1-_Z6kernelILi256ELi4EEvPKfPhm
                                        ; -- End function
	.set _Z6kernelILi256ELi4EEvPKfPhm.num_vgpr, 15
	.set _Z6kernelILi256ELi4EEvPKfPhm.num_agpr, 0
	.set _Z6kernelILi256ELi4EEvPKfPhm.numbered_sgpr, 14
	.set _Z6kernelILi256ELi4EEvPKfPhm.num_named_barrier, 0
	.set _Z6kernelILi256ELi4EEvPKfPhm.private_seg_size, 0
	.set _Z6kernelILi256ELi4EEvPKfPhm.uses_vcc, 1
	.set _Z6kernelILi256ELi4EEvPKfPhm.uses_flat_scratch, 0
	.set _Z6kernelILi256ELi4EEvPKfPhm.has_dyn_sized_stack, 0
	.set _Z6kernelILi256ELi4EEvPKfPhm.has_recursion, 0
	.set _Z6kernelILi256ELi4EEvPKfPhm.has_indirect_call, 0
	.section	.AMDGPU.csdata,"",@progbits
; Kernel info:
; codeLenInByte = 660
; TotalNumSgprs: 16
; NumVgprs: 15
; ScratchSize: 0
; MemoryBound: 0
; FloatMode: 240
; IeeeMode: 1
; LDSByteSize: 0 bytes/workgroup (compile time only)
; SGPRBlocks: 0
; VGPRBlocks: 0
; NumSGPRsForWavesPerEU: 16
; NumVGPRsForWavesPerEU: 15
; NamedBarCnt: 0
; Occupancy: 16
; WaveLimiterHint : 0
; COMPUTE_PGM_RSRC2:SCRATCH_EN: 0
; COMPUTE_PGM_RSRC2:USER_SGPR: 2
; COMPUTE_PGM_RSRC2:TRAP_HANDLER: 0
; COMPUTE_PGM_RSRC2:TGID_X_EN: 1
; COMPUTE_PGM_RSRC2:TGID_Y_EN: 0
; COMPUTE_PGM_RSRC2:TGID_Z_EN: 0
; COMPUTE_PGM_RSRC2:TIDIG_COMP_CNT: 0
	.text
	.p2alignl 7, 3214868480
	.fill 96, 4, 3214868480
	.section	.AMDGPU.gpr_maximums,"",@progbits
	.set amdgpu.max_num_vgpr, 0
	.set amdgpu.max_num_agpr, 0
	.set amdgpu.max_num_sgpr, 0
	.text
	.type	__hip_cuid_b56b777d903b5657,@object ; @__hip_cuid_b56b777d903b5657
	.section	.bss,"aw",@nobits
	.globl	__hip_cuid_b56b777d903b5657
__hip_cuid_b56b777d903b5657:
	.byte	0                               ; 0x0
	.size	__hip_cuid_b56b777d903b5657, 1

	.ident	"AMD clang version 22.0.0git (https://github.com/RadeonOpenCompute/llvm-project roc-7.2.4 26084 f58b06dce1f9c15707c5f808fd002e18c2accf7e)"
	.section	".note.GNU-stack","",@progbits
	.addrsig
	.addrsig_sym __hip_cuid_b56b777d903b5657
	.amdgpu_metadata
---
amdhsa.kernels:
  - .args:
      - .actual_access:  read_only
        .address_space:  global
        .offset:         0
        .size:           8
        .value_kind:     global_buffer
      - .address_space:  global
        .offset:         8
        .size:           8
        .value_kind:     global_buffer
      - .offset:         16
        .size:           8
        .value_kind:     by_value
      - .offset:         24
        .size:           4
        .value_kind:     hidden_block_count_x
      - .offset:         28
        .size:           4
        .value_kind:     hidden_block_count_y
      - .offset:         32
        .size:           4
        .value_kind:     hidden_block_count_z
      - .offset:         36
        .size:           2
        .value_kind:     hidden_group_size_x
      - .offset:         38
        .size:           2
        .value_kind:     hidden_group_size_y
      - .offset:         40
        .size:           2
        .value_kind:     hidden_group_size_z
      - .offset:         42
        .size:           2
        .value_kind:     hidden_remainder_x
      - .offset:         44
        .size:           2
        .value_kind:     hidden_remainder_y
      - .offset:         46
        .size:           2
        .value_kind:     hidden_remainder_z
      - .offset:         64
        .size:           8
        .value_kind:     hidden_global_offset_x
      - .offset:         72
        .size:           8
        .value_kind:     hidden_global_offset_y
      - .offset:         80
        .size:           8
        .value_kind:     hidden_global_offset_z
      - .offset:         88
        .size:           2
        .value_kind:     hidden_grid_dims
    .group_segment_fixed_size: 0
    .kernarg_segment_align: 8
    .kernarg_segment_size: 280
    .language:       OpenCL C
    .language_version:
      - 2
      - 0
    .max_flat_workgroup_size: 1024
    .name:           _Z9referencePKfPhm
    .private_segment_fixed_size: 0
    .sgpr_count:     16
    .sgpr_spill_count: 0
    .symbol:         _Z9referencePKfPhm.kd
    .uniform_work_group_size: 1
    .uses_dynamic_stack: false
    .vgpr_count:     10
    .vgpr_spill_count: 0
    .wavefront_size: 32
  - .args:
      - .actual_access:  read_only
        .address_space:  global
        .offset:         0
        .size:           8
        .value_kind:     global_buffer
      - .address_space:  global
        .offset:         8
        .size:           8
        .value_kind:     global_buffer
      - .offset:         16
        .size:           8
        .value_kind:     by_value
      - .offset:         24
        .size:           4
        .value_kind:     hidden_block_count_x
      - .offset:         28
        .size:           4
        .value_kind:     hidden_block_count_y
      - .offset:         32
        .size:           4
        .value_kind:     hidden_block_count_z
      - .offset:         36
        .size:           2
        .value_kind:     hidden_group_size_x
      - .offset:         38
        .size:           2
        .value_kind:     hidden_group_size_y
      - .offset:         40
        .size:           2
        .value_kind:     hidden_group_size_z
      - .offset:         42
        .size:           2
        .value_kind:     hidden_remainder_x
      - .offset:         44
        .size:           2
        .value_kind:     hidden_remainder_y
      - .offset:         46
        .size:           2
        .value_kind:     hidden_remainder_z
      - .offset:         64
        .size:           8
        .value_kind:     hidden_global_offset_x
      - .offset:         72
        .size:           8
        .value_kind:     hidden_global_offset_y
      - .offset:         80
        .size:           8
        .value_kind:     hidden_global_offset_z
      - .offset:         88
        .size:           2
        .value_kind:     hidden_grid_dims
    .group_segment_fixed_size: 0
    .kernarg_segment_align: 8
    .kernarg_segment_size: 280
    .language:       OpenCL C
    .language_version:
      - 2
      - 0
    .max_flat_workgroup_size: 1024
    .name:           _Z6kernelILi256ELi4EEvPKfPhm
    .private_segment_fixed_size: 0
    .sgpr_count:     16
    .sgpr_spill_count: 0
    .symbol:         _Z6kernelILi256ELi4EEvPKfPhm.kd
    .uniform_work_group_size: 1
    .uses_dynamic_stack: false
    .vgpr_count:     15
    .vgpr_spill_count: 0
    .wavefront_size: 32
amdhsa.target:   amdgcn-amd-amdhsa--gfx1250
amdhsa.version:
  - 1
  - 2
...

	.end_amdgpu_metadata
